;; amdgpu-corpus repo=zjin-lcf/HeCBench kind=compiled arch=gfx1201 opt=O3
	.amdgcn_target "amdgcn-amd-amdhsa--gfx1201"
	.amdhsa_code_object_version 6
	.section	.text._Z19moe_sum_kernel_vec4ILi2EEvPfPKfi,"axG",@progbits,_Z19moe_sum_kernel_vec4ILi2EEvPfPKfi,comdat
	.protected	_Z19moe_sum_kernel_vec4ILi2EEvPfPKfi ; -- Begin function _Z19moe_sum_kernel_vec4ILi2EEvPfPKfi
	.globl	_Z19moe_sum_kernel_vec4ILi2EEvPfPKfi
	.p2align	8
	.type	_Z19moe_sum_kernel_vec4ILi2EEvPfPKfi,@function
_Z19moe_sum_kernel_vec4ILi2EEvPfPKfi:   ; @_Z19moe_sum_kernel_vec4ILi2EEvPfPKfi
; %bb.0:
	s_load_b32 s8, s[0:1], 0x10
	s_mov_b32 s2, exec_lo
	s_wait_kmcnt 0x0
	s_ashr_i32 s10, s8, 2
	s_delay_alu instid0(SALU_CYCLE_1)
	v_cmpx_gt_i32_e64 s10, v0
	s_cbranch_execz .LBB0_3
; %bb.1:
	s_mov_b32 s2, ttmp9
	s_mov_b32 s3, 0
	s_ashr_i32 s9, s8, 31
	s_load_b128 s[4:7], s[0:1], 0x0
	s_mul_u64 s[8:9], s[8:9], s[2:3]
	s_load_b32 s0, s[0:1], 0x24
	s_lshr_b64 s[12:13], s[8:9], 2
	s_delay_alu instid0(SALU_CYCLE_1) | instskip(NEXT) | instid1(VALU_DEP_1)
	v_add_nc_u32_e32 v1, s12, v0
	v_ashrrev_i32_e32 v2, 31, v1
	s_delay_alu instid0(VALU_DEP_1) | instskip(SKIP_1) | instid1(VALU_DEP_1)
	v_lshlrev_b64_e32 v[1:2], 4, v[1:2]
	s_wait_kmcnt 0x0
	v_add_co_u32 v1, vcc_lo, s4, v1
	s_delay_alu instid0(VALU_DEP_1)
	v_add_co_ci_u32_e64 v2, null, s5, v2, vcc_lo
	s_lshr_b64 s[4:5], s[8:9], 1
	v_add_co_u32 v1, vcc_lo, v1, 8
	s_wait_alu 0xfffd
	v_add_co_ci_u32_e64 v2, null, 0, v2, vcc_lo
	s_and_b32 s1, s0, 0xffff
	s_wait_alu 0xfffe
	s_add_co_i32 s2, s10, s4
	s_lshl_b32 s5, s1, 4
.LBB0_2:                                ; =>This Inner Loop Header: Depth=1
	v_add_nc_u32_e32 v3, s4, v0
	v_add_nc_u32_e32 v5, s2, v0
	s_delay_alu instid0(VALU_DEP_2) | instskip(NEXT) | instid1(VALU_DEP_2)
	v_ashrrev_i32_e32 v4, 31, v3
	v_ashrrev_i32_e32 v6, 31, v5
	s_delay_alu instid0(VALU_DEP_2) | instskip(NEXT) | instid1(VALU_DEP_2)
	v_lshlrev_b64_e32 v[3:4], 4, v[3:4]
	v_lshlrev_b64_e32 v[5:6], 4, v[5:6]
	s_delay_alu instid0(VALU_DEP_2) | instskip(SKIP_1) | instid1(VALU_DEP_3)
	v_add_co_u32 v3, vcc_lo, s6, v3
	s_wait_alu 0xfffd
	v_add_co_ci_u32_e64 v4, null, s7, v4, vcc_lo
	s_delay_alu instid0(VALU_DEP_3)
	v_add_co_u32 v7, vcc_lo, s6, v5
	s_wait_alu 0xfffd
	v_add_co_ci_u32_e64 v8, null, s7, v6, vcc_lo
	s_clause 0x1
	global_load_b128 v[3:6], v[3:4], off
	global_load_b128 v[7:10], v[7:8], off
	s_wait_loadcnt 0x1
	v_dual_add_f32 v3, 0, v3 :: v_dual_add_nc_u32 v0, s1, v0
	v_dual_add_f32 v4, 0, v4 :: v_dual_add_f32 v5, 0, v5
	v_add_f32_e32 v6, 0, v6
	s_delay_alu instid0(VALU_DEP_3) | instskip(SKIP_1) | instid1(VALU_DEP_3)
	v_cmp_le_i32_e32 vcc_lo, s10, v0
	s_wait_loadcnt 0x0
	v_dual_add_f32 v3, v3, v7 :: v_dual_add_f32 v4, v4, v8
	s_delay_alu instid0(VALU_DEP_3)
	v_dual_add_f32 v5, v5, v9 :: v_dual_add_f32 v6, v6, v10
	s_or_b32 s3, vcc_lo, s3
	global_store_b128 v[1:2], v[3:6], off offset:-8
	s_wait_alu 0xfffe
	v_add_co_u32 v1, s0, v1, s5
	s_wait_alu 0xf1ff
	v_add_co_ci_u32_e64 v2, null, 0, v2, s0
	s_and_not1_b32 exec_lo, exec_lo, s3
	s_cbranch_execnz .LBB0_2
.LBB0_3:
	s_endpgm
	.section	.rodata,"a",@progbits
	.p2align	6, 0x0
	.amdhsa_kernel _Z19moe_sum_kernel_vec4ILi2EEvPfPKfi
		.amdhsa_group_segment_fixed_size 0
		.amdhsa_private_segment_fixed_size 0
		.amdhsa_kernarg_size 280
		.amdhsa_user_sgpr_count 2
		.amdhsa_user_sgpr_dispatch_ptr 0
		.amdhsa_user_sgpr_queue_ptr 0
		.amdhsa_user_sgpr_kernarg_segment_ptr 1
		.amdhsa_user_sgpr_dispatch_id 0
		.amdhsa_user_sgpr_private_segment_size 0
		.amdhsa_wavefront_size32 1
		.amdhsa_uses_dynamic_stack 0
		.amdhsa_enable_private_segment 0
		.amdhsa_system_sgpr_workgroup_id_x 1
		.amdhsa_system_sgpr_workgroup_id_y 0
		.amdhsa_system_sgpr_workgroup_id_z 0
		.amdhsa_system_sgpr_workgroup_info 0
		.amdhsa_system_vgpr_workitem_id 0
		.amdhsa_next_free_vgpr 11
		.amdhsa_next_free_sgpr 14
		.amdhsa_reserve_vcc 1
		.amdhsa_float_round_mode_32 0
		.amdhsa_float_round_mode_16_64 0
		.amdhsa_float_denorm_mode_32 3
		.amdhsa_float_denorm_mode_16_64 3
		.amdhsa_fp16_overflow 0
		.amdhsa_workgroup_processor_mode 1
		.amdhsa_memory_ordered 1
		.amdhsa_forward_progress 1
		.amdhsa_inst_pref_size 3
		.amdhsa_round_robin_scheduling 0
		.amdhsa_exception_fp_ieee_invalid_op 0
		.amdhsa_exception_fp_denorm_src 0
		.amdhsa_exception_fp_ieee_div_zero 0
		.amdhsa_exception_fp_ieee_overflow 0
		.amdhsa_exception_fp_ieee_underflow 0
		.amdhsa_exception_fp_ieee_inexact 0
		.amdhsa_exception_int_div_zero 0
	.end_amdhsa_kernel
	.section	.text._Z19moe_sum_kernel_vec4ILi2EEvPfPKfi,"axG",@progbits,_Z19moe_sum_kernel_vec4ILi2EEvPfPKfi,comdat
.Lfunc_end0:
	.size	_Z19moe_sum_kernel_vec4ILi2EEvPfPKfi, .Lfunc_end0-_Z19moe_sum_kernel_vec4ILi2EEvPfPKfi
                                        ; -- End function
	.set _Z19moe_sum_kernel_vec4ILi2EEvPfPKfi.num_vgpr, 11
	.set _Z19moe_sum_kernel_vec4ILi2EEvPfPKfi.num_agpr, 0
	.set _Z19moe_sum_kernel_vec4ILi2EEvPfPKfi.numbered_sgpr, 14
	.set _Z19moe_sum_kernel_vec4ILi2EEvPfPKfi.num_named_barrier, 0
	.set _Z19moe_sum_kernel_vec4ILi2EEvPfPKfi.private_seg_size, 0
	.set _Z19moe_sum_kernel_vec4ILi2EEvPfPKfi.uses_vcc, 1
	.set _Z19moe_sum_kernel_vec4ILi2EEvPfPKfi.uses_flat_scratch, 0
	.set _Z19moe_sum_kernel_vec4ILi2EEvPfPKfi.has_dyn_sized_stack, 0
	.set _Z19moe_sum_kernel_vec4ILi2EEvPfPKfi.has_recursion, 0
	.set _Z19moe_sum_kernel_vec4ILi2EEvPfPKfi.has_indirect_call, 0
	.section	.AMDGPU.csdata,"",@progbits
; Kernel info:
; codeLenInByte = 376
; TotalNumSgprs: 16
; NumVgprs: 11
; ScratchSize: 0
; MemoryBound: 0
; FloatMode: 240
; IeeeMode: 1
; LDSByteSize: 0 bytes/workgroup (compile time only)
; SGPRBlocks: 0
; VGPRBlocks: 1
; NumSGPRsForWavesPerEU: 16
; NumVGPRsForWavesPerEU: 11
; Occupancy: 16
; WaveLimiterHint : 0
; COMPUTE_PGM_RSRC2:SCRATCH_EN: 0
; COMPUTE_PGM_RSRC2:USER_SGPR: 2
; COMPUTE_PGM_RSRC2:TRAP_HANDLER: 0
; COMPUTE_PGM_RSRC2:TGID_X_EN: 1
; COMPUTE_PGM_RSRC2:TGID_Y_EN: 0
; COMPUTE_PGM_RSRC2:TGID_Z_EN: 0
; COMPUTE_PGM_RSRC2:TIDIG_COMP_CNT: 0
	.section	.text._Z19moe_sum_kernel_vec4ILi3EEvPfPKfi,"axG",@progbits,_Z19moe_sum_kernel_vec4ILi3EEvPfPKfi,comdat
	.protected	_Z19moe_sum_kernel_vec4ILi3EEvPfPKfi ; -- Begin function _Z19moe_sum_kernel_vec4ILi3EEvPfPKfi
	.globl	_Z19moe_sum_kernel_vec4ILi3EEvPfPKfi
	.p2align	8
	.type	_Z19moe_sum_kernel_vec4ILi3EEvPfPKfi,@function
_Z19moe_sum_kernel_vec4ILi3EEvPfPKfi:   ; @_Z19moe_sum_kernel_vec4ILi3EEvPfPKfi
; %bb.0:
	s_load_b32 s8, s[0:1], 0x10
	s_mov_b32 s2, exec_lo
	s_wait_kmcnt 0x0
	s_ashr_i32 s12, s8, 2
	s_delay_alu instid0(SALU_CYCLE_1)
	v_cmpx_gt_i32_e64 s12, v0
	s_cbranch_execz .LBB1_3
; %bb.1:
	s_clause 0x1
	s_load_b32 s13, s[0:1], 0x24
	s_load_b128 s[4:7], s[0:1], 0x0
	s_mov_b32 s2, ttmp9
	s_mov_b32 s3, 0
	s_ashr_i32 s9, s8, 31
	s_delay_alu instid0(SALU_CYCLE_1) | instskip(SKIP_4) | instid1(SALU_CYCLE_1)
	s_mul_u64 s[0:1], s[8:9], s[2:3]
	s_lshl_b32 s2, s12, 1
	s_mul_u64 s[8:9], s[0:1], 3
	s_lshr_b64 s[10:11], s[0:1], 2
	s_lshr_b64 s[8:9], s[8:9], 2
	s_add_co_i32 s1, s8, s2
	s_add_co_i32 s9, s8, s12
	s_wait_kmcnt 0x0
	s_and_b32 s2, s13, 0xffff
.LBB1_2:                                ; =>This Inner Loop Header: Depth=1
	v_add_nc_u32_e32 v1, s8, v0
	v_add_nc_u32_e32 v3, s9, v0
	;; [unrolled: 1-line block ×4, first 2 shown]
	s_delay_alu instid0(VALU_DEP_4) | instskip(NEXT) | instid1(VALU_DEP_4)
	v_ashrrev_i32_e32 v2, 31, v1
	v_ashrrev_i32_e32 v4, 31, v3
	s_delay_alu instid0(VALU_DEP_4) | instskip(NEXT) | instid1(VALU_DEP_4)
	v_ashrrev_i32_e32 v6, 31, v5
	v_ashrrev_i32_e32 v14, 31, v13
	s_delay_alu instid0(VALU_DEP_4) | instskip(NEXT) | instid1(VALU_DEP_4)
	v_lshlrev_b64_e32 v[1:2], 4, v[1:2]
	v_lshlrev_b64_e32 v[3:4], 4, v[3:4]
	s_delay_alu instid0(VALU_DEP_4) | instskip(NEXT) | instid1(VALU_DEP_4)
	v_lshlrev_b64_e32 v[5:6], 4, v[5:6]
	v_lshlrev_b64_e32 v[13:14], 4, v[13:14]
	s_delay_alu instid0(VALU_DEP_4)
	v_add_co_u32 v1, vcc_lo, s6, v1
	s_wait_alu 0xfffd
	v_add_co_ci_u32_e64 v2, null, s7, v2, vcc_lo
	v_add_co_u32 v7, vcc_lo, s6, v3
	s_wait_alu 0xfffd
	v_add_co_ci_u32_e64 v8, null, s7, v4, vcc_lo
	;; [unrolled: 3-line block ×3, first 2 shown]
	s_clause 0x2
	global_load_b128 v[1:4], v[1:2], off
	global_load_b128 v[5:8], v[7:8], off
	;; [unrolled: 1-line block ×3, first 2 shown]
	v_add_nc_u32_e32 v0, s2, v0
	v_add_co_u32 v13, s0, s4, v13
	s_wait_alu 0xf1ff
	v_add_co_ci_u32_e64 v14, null, s5, v14, s0
	s_wait_loadcnt 0x2
	v_dual_add_f32 v1, 0, v1 :: v_dual_add_f32 v2, 0, v2
	v_dual_add_f32 v3, 0, v3 :: v_dual_add_f32 v4, 0, v4
	v_cmp_le_i32_e32 vcc_lo, s12, v0
	s_wait_loadcnt 0x1
	s_delay_alu instid0(VALU_DEP_3) | instskip(NEXT) | instid1(VALU_DEP_3)
	v_dual_add_f32 v1, v1, v5 :: v_dual_add_f32 v2, v2, v6
	v_dual_add_f32 v4, v4, v8 :: v_dual_add_f32 v3, v3, v7
	s_wait_loadcnt 0x0
	s_delay_alu instid0(VALU_DEP_2) | instskip(SKIP_1) | instid1(VALU_DEP_2)
	v_dual_add_f32 v1, v1, v9 :: v_dual_add_f32 v2, v2, v10
	s_or_b32 s3, vcc_lo, s3
	v_dual_add_f32 v4, v4, v12 :: v_dual_add_f32 v3, v3, v11
	global_store_b128 v[13:14], v[1:4], off
	s_wait_alu 0xfffe
	s_and_not1_b32 exec_lo, exec_lo, s3
	s_cbranch_execnz .LBB1_2
.LBB1_3:
	s_endpgm
	.section	.rodata,"a",@progbits
	.p2align	6, 0x0
	.amdhsa_kernel _Z19moe_sum_kernel_vec4ILi3EEvPfPKfi
		.amdhsa_group_segment_fixed_size 0
		.amdhsa_private_segment_fixed_size 0
		.amdhsa_kernarg_size 280
		.amdhsa_user_sgpr_count 2
		.amdhsa_user_sgpr_dispatch_ptr 0
		.amdhsa_user_sgpr_queue_ptr 0
		.amdhsa_user_sgpr_kernarg_segment_ptr 1
		.amdhsa_user_sgpr_dispatch_id 0
		.amdhsa_user_sgpr_private_segment_size 0
		.amdhsa_wavefront_size32 1
		.amdhsa_uses_dynamic_stack 0
		.amdhsa_enable_private_segment 0
		.amdhsa_system_sgpr_workgroup_id_x 1
		.amdhsa_system_sgpr_workgroup_id_y 0
		.amdhsa_system_sgpr_workgroup_id_z 0
		.amdhsa_system_sgpr_workgroup_info 0
		.amdhsa_system_vgpr_workitem_id 0
		.amdhsa_next_free_vgpr 15
		.amdhsa_next_free_sgpr 14
		.amdhsa_reserve_vcc 1
		.amdhsa_float_round_mode_32 0
		.amdhsa_float_round_mode_16_64 0
		.amdhsa_float_denorm_mode_32 3
		.amdhsa_float_denorm_mode_16_64 3
		.amdhsa_fp16_overflow 0
		.amdhsa_workgroup_processor_mode 1
		.amdhsa_memory_ordered 1
		.amdhsa_forward_progress 1
		.amdhsa_inst_pref_size 4
		.amdhsa_round_robin_scheduling 0
		.amdhsa_exception_fp_ieee_invalid_op 0
		.amdhsa_exception_fp_denorm_src 0
		.amdhsa_exception_fp_ieee_div_zero 0
		.amdhsa_exception_fp_ieee_overflow 0
		.amdhsa_exception_fp_ieee_underflow 0
		.amdhsa_exception_fp_ieee_inexact 0
		.amdhsa_exception_int_div_zero 0
	.end_amdhsa_kernel
	.section	.text._Z19moe_sum_kernel_vec4ILi3EEvPfPKfi,"axG",@progbits,_Z19moe_sum_kernel_vec4ILi3EEvPfPKfi,comdat
.Lfunc_end1:
	.size	_Z19moe_sum_kernel_vec4ILi3EEvPfPKfi, .Lfunc_end1-_Z19moe_sum_kernel_vec4ILi3EEvPfPKfi
                                        ; -- End function
	.set _Z19moe_sum_kernel_vec4ILi3EEvPfPKfi.num_vgpr, 15
	.set _Z19moe_sum_kernel_vec4ILi3EEvPfPKfi.num_agpr, 0
	.set _Z19moe_sum_kernel_vec4ILi3EEvPfPKfi.numbered_sgpr, 14
	.set _Z19moe_sum_kernel_vec4ILi3EEvPfPKfi.num_named_barrier, 0
	.set _Z19moe_sum_kernel_vec4ILi3EEvPfPKfi.private_seg_size, 0
	.set _Z19moe_sum_kernel_vec4ILi3EEvPfPKfi.uses_vcc, 1
	.set _Z19moe_sum_kernel_vec4ILi3EEvPfPKfi.uses_flat_scratch, 0
	.set _Z19moe_sum_kernel_vec4ILi3EEvPfPKfi.has_dyn_sized_stack, 0
	.set _Z19moe_sum_kernel_vec4ILi3EEvPfPKfi.has_recursion, 0
	.set _Z19moe_sum_kernel_vec4ILi3EEvPfPKfi.has_indirect_call, 0
	.section	.AMDGPU.csdata,"",@progbits
; Kernel info:
; codeLenInByte = 408
; TotalNumSgprs: 16
; NumVgprs: 15
; ScratchSize: 0
; MemoryBound: 0
; FloatMode: 240
; IeeeMode: 1
; LDSByteSize: 0 bytes/workgroup (compile time only)
; SGPRBlocks: 0
; VGPRBlocks: 1
; NumSGPRsForWavesPerEU: 16
; NumVGPRsForWavesPerEU: 15
; Occupancy: 16
; WaveLimiterHint : 0
; COMPUTE_PGM_RSRC2:SCRATCH_EN: 0
; COMPUTE_PGM_RSRC2:USER_SGPR: 2
; COMPUTE_PGM_RSRC2:TRAP_HANDLER: 0
; COMPUTE_PGM_RSRC2:TGID_X_EN: 1
; COMPUTE_PGM_RSRC2:TGID_Y_EN: 0
; COMPUTE_PGM_RSRC2:TGID_Z_EN: 0
; COMPUTE_PGM_RSRC2:TIDIG_COMP_CNT: 0
	.section	.text._Z19moe_sum_kernel_vec4ILi4EEvPfPKfi,"axG",@progbits,_Z19moe_sum_kernel_vec4ILi4EEvPfPKfi,comdat
	.protected	_Z19moe_sum_kernel_vec4ILi4EEvPfPKfi ; -- Begin function _Z19moe_sum_kernel_vec4ILi4EEvPfPKfi
	.globl	_Z19moe_sum_kernel_vec4ILi4EEvPfPKfi
	.p2align	8
	.type	_Z19moe_sum_kernel_vec4ILi4EEvPfPKfi,@function
_Z19moe_sum_kernel_vec4ILi4EEvPfPKfi:   ; @_Z19moe_sum_kernel_vec4ILi4EEvPfPKfi
; %bb.0:
	s_load_b32 s10, s[0:1], 0x10
	s_mov_b32 s2, exec_lo
	s_wait_kmcnt 0x0
	s_ashr_i32 s12, s10, 2
	s_delay_alu instid0(SALU_CYCLE_1)
	v_cmpx_gt_i32_e64 s12, v0
	s_cbranch_execz .LBB2_3
; %bb.1:
	s_clause 0x1
	s_load_b32 s13, s[0:1], 0x24
	s_load_b128 s[4:7], s[0:1], 0x0
	s_mov_b32 s2, ttmp9
	s_mov_b32 s3, 0
	s_ashr_i32 s11, s10, 31
	s_delay_alu instid0(SALU_CYCLE_1) | instskip(NEXT) | instid1(SALU_CYCLE_1)
	s_mul_u64 s[0:1], s[10:11], s[2:3]
	s_lshr_b64 s[8:9], s[0:1], 2
	s_mul_i32 s1, s10, ttmp9
	s_wait_kmcnt 0x0
	s_and_b32 s2, s13, 0xffff
.LBB2_2:                                ; =>This Inner Loop Header: Depth=1
	v_add_nc_u32_e32 v1, s1, v0
	s_delay_alu instid0(VALU_DEP_1) | instskip(SKIP_1) | instid1(VALU_DEP_2)
	v_ashrrev_i32_e32 v2, 31, v1
	v_add_nc_u32_e32 v3, s12, v1
	v_lshlrev_b64_e32 v[1:2], 4, v[1:2]
	s_delay_alu instid0(VALU_DEP_2) | instskip(SKIP_1) | instid1(VALU_DEP_2)
	v_ashrrev_i32_e32 v4, 31, v3
	v_add_nc_u32_e32 v5, s12, v3
	v_lshlrev_b64_e32 v[7:8], 4, v[3:4]
	s_delay_alu instid0(VALU_DEP_4) | instskip(SKIP_3) | instid1(VALU_DEP_4)
	v_add_co_u32 v1, vcc_lo, s6, v1
	s_wait_alu 0xfffd
	v_add_co_ci_u32_e64 v2, null, s7, v2, vcc_lo
	v_ashrrev_i32_e32 v6, 31, v5
	v_add_co_u32 v7, vcc_lo, s6, v7
	global_load_b128 v[1:4], v[1:2], off
	s_wait_alu 0xfffd
	v_add_co_ci_u32_e64 v8, null, s7, v8, vcc_lo
	s_wait_loadcnt 0x0
	v_dual_add_f32 v4, 0, v4 :: v_dual_add_nc_u32 v9, s12, v5
	v_lshlrev_b64_e32 v[5:6], 4, v[5:6]
	v_dual_add_f32 v2, 0, v2 :: v_dual_add_f32 v1, 0, v1
	s_delay_alu instid0(VALU_DEP_3) | instskip(NEXT) | instid1(VALU_DEP_1)
	v_ashrrev_i32_e32 v10, 31, v9
	v_lshlrev_b64_e32 v[13:14], 4, v[9:10]
	s_delay_alu instid0(VALU_DEP_4)
	v_add_co_u32 v9, vcc_lo, s6, v5
	s_wait_alu 0xfffd
	v_add_co_ci_u32_e64 v10, null, s7, v6, vcc_lo
	s_clause 0x1
	global_load_b128 v[5:8], v[7:8], off
	global_load_b128 v[9:12], v[9:10], off
	v_add_co_u32 v13, vcc_lo, s6, v13
	s_wait_alu 0xfffd
	v_add_co_ci_u32_e64 v14, null, s7, v14, vcc_lo
	global_load_b128 v[13:16], v[13:14], off
	s_wait_loadcnt 0x2
	v_dual_add_f32 v2, v2, v6 :: v_dual_add_nc_u32 v17, s8, v0
	v_add_nc_u32_e32 v0, s2, v0
	v_dual_add_f32 v4, v4, v8 :: v_dual_add_f32 v3, 0, v3
	s_wait_loadcnt 0x1
	s_delay_alu instid0(VALU_DEP_3) | instskip(SKIP_1) | instid1(VALU_DEP_3)
	v_add_f32_e32 v2, v2, v10
	v_ashrrev_i32_e32 v18, 31, v17
	v_dual_add_f32 v1, v1, v5 :: v_dual_add_f32 v4, v4, v12
	s_wait_loadcnt 0x0
	s_delay_alu instid0(VALU_DEP_3) | instskip(NEXT) | instid1(VALU_DEP_3)
	v_dual_add_f32 v3, v3, v7 :: v_dual_add_f32 v2, v2, v14
	v_lshlrev_b64_e32 v[17:18], 4, v[17:18]
	s_delay_alu instid0(VALU_DEP_3) | instskip(NEXT) | instid1(VALU_DEP_3)
	v_dual_add_f32 v1, v1, v9 :: v_dual_add_f32 v4, v4, v16
	v_add_f32_e32 v3, v3, v11
	v_cmp_le_i32_e32 vcc_lo, s12, v0
	s_delay_alu instid0(VALU_DEP_4)
	v_add_co_u32 v17, s0, s4, v17
	s_wait_alu 0xf1ff
	v_add_co_ci_u32_e64 v18, null, s5, v18, s0
	v_add_f32_e32 v1, v1, v13
	v_add_f32_e32 v3, v3, v15
	s_or_b32 s3, vcc_lo, s3
	global_store_b128 v[17:18], v[1:4], off
	s_wait_alu 0xfffe
	s_and_not1_b32 exec_lo, exec_lo, s3
	s_cbranch_execnz .LBB2_2
.LBB2_3:
	s_endpgm
	.section	.rodata,"a",@progbits
	.p2align	6, 0x0
	.amdhsa_kernel _Z19moe_sum_kernel_vec4ILi4EEvPfPKfi
		.amdhsa_group_segment_fixed_size 0
		.amdhsa_private_segment_fixed_size 0
		.amdhsa_kernarg_size 280
		.amdhsa_user_sgpr_count 2
		.amdhsa_user_sgpr_dispatch_ptr 0
		.amdhsa_user_sgpr_queue_ptr 0
		.amdhsa_user_sgpr_kernarg_segment_ptr 1
		.amdhsa_user_sgpr_dispatch_id 0
		.amdhsa_user_sgpr_private_segment_size 0
		.amdhsa_wavefront_size32 1
		.amdhsa_uses_dynamic_stack 0
		.amdhsa_enable_private_segment 0
		.amdhsa_system_sgpr_workgroup_id_x 1
		.amdhsa_system_sgpr_workgroup_id_y 0
		.amdhsa_system_sgpr_workgroup_id_z 0
		.amdhsa_system_sgpr_workgroup_info 0
		.amdhsa_system_vgpr_workitem_id 0
		.amdhsa_next_free_vgpr 19
		.amdhsa_next_free_sgpr 14
		.amdhsa_reserve_vcc 1
		.amdhsa_float_round_mode_32 0
		.amdhsa_float_round_mode_16_64 0
		.amdhsa_float_denorm_mode_32 3
		.amdhsa_float_denorm_mode_16_64 3
		.amdhsa_fp16_overflow 0
		.amdhsa_workgroup_processor_mode 1
		.amdhsa_memory_ordered 1
		.amdhsa_forward_progress 1
		.amdhsa_inst_pref_size 4
		.amdhsa_round_robin_scheduling 0
		.amdhsa_exception_fp_ieee_invalid_op 0
		.amdhsa_exception_fp_denorm_src 0
		.amdhsa_exception_fp_ieee_div_zero 0
		.amdhsa_exception_fp_ieee_overflow 0
		.amdhsa_exception_fp_ieee_underflow 0
		.amdhsa_exception_fp_ieee_inexact 0
		.amdhsa_exception_int_div_zero 0
	.end_amdhsa_kernel
	.section	.text._Z19moe_sum_kernel_vec4ILi4EEvPfPKfi,"axG",@progbits,_Z19moe_sum_kernel_vec4ILi4EEvPfPKfi,comdat
.Lfunc_end2:
	.size	_Z19moe_sum_kernel_vec4ILi4EEvPfPKfi, .Lfunc_end2-_Z19moe_sum_kernel_vec4ILi4EEvPfPKfi
                                        ; -- End function
	.set _Z19moe_sum_kernel_vec4ILi4EEvPfPKfi.num_vgpr, 19
	.set _Z19moe_sum_kernel_vec4ILi4EEvPfPKfi.num_agpr, 0
	.set _Z19moe_sum_kernel_vec4ILi4EEvPfPKfi.numbered_sgpr, 14
	.set _Z19moe_sum_kernel_vec4ILi4EEvPfPKfi.num_named_barrier, 0
	.set _Z19moe_sum_kernel_vec4ILi4EEvPfPKfi.private_seg_size, 0
	.set _Z19moe_sum_kernel_vec4ILi4EEvPfPKfi.uses_vcc, 1
	.set _Z19moe_sum_kernel_vec4ILi4EEvPfPKfi.uses_flat_scratch, 0
	.set _Z19moe_sum_kernel_vec4ILi4EEvPfPKfi.has_dyn_sized_stack, 0
	.set _Z19moe_sum_kernel_vec4ILi4EEvPfPKfi.has_recursion, 0
	.set _Z19moe_sum_kernel_vec4ILi4EEvPfPKfi.has_indirect_call, 0
	.section	.AMDGPU.csdata,"",@progbits
; Kernel info:
; codeLenInByte = 464
; TotalNumSgprs: 16
; NumVgprs: 19
; ScratchSize: 0
; MemoryBound: 0
; FloatMode: 240
; IeeeMode: 1
; LDSByteSize: 0 bytes/workgroup (compile time only)
; SGPRBlocks: 0
; VGPRBlocks: 2
; NumSGPRsForWavesPerEU: 16
; NumVGPRsForWavesPerEU: 19
; Occupancy: 16
; WaveLimiterHint : 0
; COMPUTE_PGM_RSRC2:SCRATCH_EN: 0
; COMPUTE_PGM_RSRC2:USER_SGPR: 2
; COMPUTE_PGM_RSRC2:TRAP_HANDLER: 0
; COMPUTE_PGM_RSRC2:TGID_X_EN: 1
; COMPUTE_PGM_RSRC2:TGID_Y_EN: 0
; COMPUTE_PGM_RSRC2:TGID_Z_EN: 0
; COMPUTE_PGM_RSRC2:TIDIG_COMP_CNT: 0
	.section	.text._Z14moe_sum_kernelIfLi2EEvPT_PKS0_i,"axG",@progbits,_Z14moe_sum_kernelIfLi2EEvPT_PKS0_i,comdat
	.protected	_Z14moe_sum_kernelIfLi2EEvPT_PKS0_i ; -- Begin function _Z14moe_sum_kernelIfLi2EEvPT_PKS0_i
	.globl	_Z14moe_sum_kernelIfLi2EEvPT_PKS0_i
	.p2align	8
	.type	_Z14moe_sum_kernelIfLi2EEvPT_PKS0_i,@function
_Z14moe_sum_kernelIfLi2EEvPT_PKS0_i:    ; @_Z14moe_sum_kernelIfLi2EEvPT_PKS0_i
; %bb.0:
	s_load_b32 s2, s[0:1], 0x10
	s_mov_b32 s3, exec_lo
	s_wait_kmcnt 0x0
	v_cmpx_gt_i32_e64 s2, v0
	s_cbranch_execz .LBB3_3
; %bb.1:
	s_clause 0x1
	s_load_b128 s[8:11], s[0:1], 0x0
	s_load_b32 s12, s[0:1], 0x24
	s_mov_b32 s3, 0
	s_mov_b32 s4, ttmp9
	s_wait_alu 0xfffe
	s_mov_b32 s5, s3
	s_delay_alu instid0(SALU_CYCLE_1) | instskip(NEXT) | instid1(SALU_CYCLE_1)
	s_mul_u64 s[0:1], s[2:3], s[4:5]
	s_lshl_b64 s[4:5], s[0:1], 3
	s_lshl_b64 s[0:1], s[0:1], 2
	s_wait_kmcnt 0x0
	s_add_nc_u64 s[4:5], s[10:11], s[4:5]
	s_add_nc_u64 s[6:7], s[8:9], s[0:1]
	s_and_b32 s1, s12, 0xffff
	s_lshl_b64 s[8:9], s[2:3], 2
.LBB3_2:                                ; =>This Inner Loop Header: Depth=1
	v_ashrrev_i32_e32 v1, 31, v0
	s_delay_alu instid0(VALU_DEP_1) | instskip(NEXT) | instid1(VALU_DEP_1)
	v_lshlrev_b64_e32 v[1:2], 2, v[0:1]
	v_add_co_u32 v3, vcc_lo, s4, v1
	s_wait_alu 0xfffd
	s_delay_alu instid0(VALU_DEP_2) | instskip(SKIP_1) | instid1(VALU_DEP_3)
	v_add_co_ci_u32_e64 v4, null, s5, v2, vcc_lo
	v_add_co_u32 v1, s0, s6, v1
	v_add_co_u32 v5, vcc_lo, v3, s8
	s_wait_alu 0xfffd
	s_delay_alu instid0(VALU_DEP_3)
	v_add_co_ci_u32_e64 v6, null, s9, v4, vcc_lo
	s_wait_alu 0xf1ff
	v_add_co_ci_u32_e64 v2, null, s7, v2, s0
	s_clause 0x1
	global_load_b32 v3, v[3:4], off
	global_load_b32 v4, v[5:6], off
	s_wait_loadcnt 0x1
	v_dual_add_f32 v3, 0, v3 :: v_dual_add_nc_u32 v0, s1, v0
	s_delay_alu instid0(VALU_DEP_1) | instskip(SKIP_1) | instid1(VALU_DEP_2)
	v_cmp_le_i32_e32 vcc_lo, s2, v0
	s_wait_loadcnt 0x0
	v_add_f32_e32 v3, v3, v4
	s_or_b32 s3, vcc_lo, s3
	global_store_b32 v[1:2], v3, off
	s_wait_alu 0xfffe
	s_and_not1_b32 exec_lo, exec_lo, s3
	s_cbranch_execnz .LBB3_2
.LBB3_3:
	s_endpgm
	.section	.rodata,"a",@progbits
	.p2align	6, 0x0
	.amdhsa_kernel _Z14moe_sum_kernelIfLi2EEvPT_PKS0_i
		.amdhsa_group_segment_fixed_size 0
		.amdhsa_private_segment_fixed_size 0
		.amdhsa_kernarg_size 280
		.amdhsa_user_sgpr_count 2
		.amdhsa_user_sgpr_dispatch_ptr 0
		.amdhsa_user_sgpr_queue_ptr 0
		.amdhsa_user_sgpr_kernarg_segment_ptr 1
		.amdhsa_user_sgpr_dispatch_id 0
		.amdhsa_user_sgpr_private_segment_size 0
		.amdhsa_wavefront_size32 1
		.amdhsa_uses_dynamic_stack 0
		.amdhsa_enable_private_segment 0
		.amdhsa_system_sgpr_workgroup_id_x 1
		.amdhsa_system_sgpr_workgroup_id_y 0
		.amdhsa_system_sgpr_workgroup_id_z 0
		.amdhsa_system_sgpr_workgroup_info 0
		.amdhsa_system_vgpr_workitem_id 0
		.amdhsa_next_free_vgpr 7
		.amdhsa_next_free_sgpr 13
		.amdhsa_reserve_vcc 1
		.amdhsa_float_round_mode_32 0
		.amdhsa_float_round_mode_16_64 0
		.amdhsa_float_denorm_mode_32 3
		.amdhsa_float_denorm_mode_16_64 3
		.amdhsa_fp16_overflow 0
		.amdhsa_workgroup_processor_mode 1
		.amdhsa_memory_ordered 1
		.amdhsa_forward_progress 1
		.amdhsa_inst_pref_size 3
		.amdhsa_round_robin_scheduling 0
		.amdhsa_exception_fp_ieee_invalid_op 0
		.amdhsa_exception_fp_denorm_src 0
		.amdhsa_exception_fp_ieee_div_zero 0
		.amdhsa_exception_fp_ieee_overflow 0
		.amdhsa_exception_fp_ieee_underflow 0
		.amdhsa_exception_fp_ieee_inexact 0
		.amdhsa_exception_int_div_zero 0
	.end_amdhsa_kernel
	.section	.text._Z14moe_sum_kernelIfLi2EEvPT_PKS0_i,"axG",@progbits,_Z14moe_sum_kernelIfLi2EEvPT_PKS0_i,comdat
.Lfunc_end3:
	.size	_Z14moe_sum_kernelIfLi2EEvPT_PKS0_i, .Lfunc_end3-_Z14moe_sum_kernelIfLi2EEvPT_PKS0_i
                                        ; -- End function
	.set _Z14moe_sum_kernelIfLi2EEvPT_PKS0_i.num_vgpr, 7
	.set _Z14moe_sum_kernelIfLi2EEvPT_PKS0_i.num_agpr, 0
	.set _Z14moe_sum_kernelIfLi2EEvPT_PKS0_i.numbered_sgpr, 13
	.set _Z14moe_sum_kernelIfLi2EEvPT_PKS0_i.num_named_barrier, 0
	.set _Z14moe_sum_kernelIfLi2EEvPT_PKS0_i.private_seg_size, 0
	.set _Z14moe_sum_kernelIfLi2EEvPT_PKS0_i.uses_vcc, 1
	.set _Z14moe_sum_kernelIfLi2EEvPT_PKS0_i.uses_flat_scratch, 0
	.set _Z14moe_sum_kernelIfLi2EEvPT_PKS0_i.has_dyn_sized_stack, 0
	.set _Z14moe_sum_kernelIfLi2EEvPT_PKS0_i.has_recursion, 0
	.set _Z14moe_sum_kernelIfLi2EEvPT_PKS0_i.has_indirect_call, 0
	.section	.AMDGPU.csdata,"",@progbits
; Kernel info:
; codeLenInByte = 272
; TotalNumSgprs: 15
; NumVgprs: 7
; ScratchSize: 0
; MemoryBound: 0
; FloatMode: 240
; IeeeMode: 1
; LDSByteSize: 0 bytes/workgroup (compile time only)
; SGPRBlocks: 0
; VGPRBlocks: 0
; NumSGPRsForWavesPerEU: 15
; NumVGPRsForWavesPerEU: 7
; Occupancy: 16
; WaveLimiterHint : 0
; COMPUTE_PGM_RSRC2:SCRATCH_EN: 0
; COMPUTE_PGM_RSRC2:USER_SGPR: 2
; COMPUTE_PGM_RSRC2:TRAP_HANDLER: 0
; COMPUTE_PGM_RSRC2:TGID_X_EN: 1
; COMPUTE_PGM_RSRC2:TGID_Y_EN: 0
; COMPUTE_PGM_RSRC2:TGID_Z_EN: 0
; COMPUTE_PGM_RSRC2:TIDIG_COMP_CNT: 0
	.section	.text._Z14moe_sum_kernelIfLi3EEvPT_PKS0_i,"axG",@progbits,_Z14moe_sum_kernelIfLi3EEvPT_PKS0_i,comdat
	.protected	_Z14moe_sum_kernelIfLi3EEvPT_PKS0_i ; -- Begin function _Z14moe_sum_kernelIfLi3EEvPT_PKS0_i
	.globl	_Z14moe_sum_kernelIfLi3EEvPT_PKS0_i
	.p2align	8
	.type	_Z14moe_sum_kernelIfLi3EEvPT_PKS0_i,@function
_Z14moe_sum_kernelIfLi3EEvPT_PKS0_i:    ; @_Z14moe_sum_kernelIfLi3EEvPT_PKS0_i
; %bb.0:
	s_load_b32 s2, s[0:1], 0x10
	s_mov_b32 s3, exec_lo
	s_wait_kmcnt 0x0
	v_cmpx_gt_i32_e64 s2, v0
	s_cbranch_execz .LBB4_3
; %bb.1:
	s_clause 0x1
	s_load_b128 s[8:11], s[0:1], 0x0
	s_load_b32 s14, s[0:1], 0x24
	s_mov_b32 s3, 0
	s_mov_b32 s4, ttmp9
	s_wait_alu 0xfffe
	s_mov_b32 s5, s3
	s_lshl_b32 s12, s2, 1
	s_mul_u64 s[0:1], s[2:3], s[4:5]
	s_mov_b32 s13, s3
	s_mul_u64 s[6:7], s[0:1], 12
	s_lshl_b64 s[0:1], s[0:1], 2
	s_lshl_b64 s[4:5], s[2:3], 2
	s_wait_kmcnt 0x0
	s_add_nc_u64 s[6:7], s[10:11], s[6:7]
	s_add_nc_u64 s[8:9], s[8:9], s[0:1]
	s_and_b32 s1, s14, 0xffff
	s_lshl_b64 s[10:11], s[12:13], 2
.LBB4_2:                                ; =>This Inner Loop Header: Depth=1
	v_ashrrev_i32_e32 v1, 31, v0
	s_delay_alu instid0(VALU_DEP_1) | instskip(NEXT) | instid1(VALU_DEP_1)
	v_lshlrev_b64_e32 v[1:2], 2, v[0:1]
	v_add_co_u32 v3, vcc_lo, s6, v1
	s_wait_alu 0xfffd
	s_delay_alu instid0(VALU_DEP_2) | instskip(SKIP_1) | instid1(VALU_DEP_3)
	v_add_co_ci_u32_e64 v4, null, s7, v2, vcc_lo
	v_add_co_u32 v1, s0, s8, v1
	v_add_co_u32 v5, vcc_lo, v3, s4
	global_load_b32 v7, v[3:4], off
	s_wait_alu 0xfffd
	v_add_co_ci_u32_e64 v6, null, s5, v4, vcc_lo
	v_add_co_u32 v3, vcc_lo, v3, s10
	s_wait_alu 0xfffd
	v_add_co_ci_u32_e64 v4, null, s11, v4, vcc_lo
	s_clause 0x1
	global_load_b32 v5, v[5:6], off
	global_load_b32 v3, v[3:4], off
	s_wait_alu 0xf1ff
	v_add_co_ci_u32_e64 v2, null, s9, v2, s0
	s_wait_loadcnt 0x2
	v_add_f32_e32 v4, 0, v7
	s_wait_loadcnt 0x1
	s_delay_alu instid0(VALU_DEP_1) | instskip(SKIP_1) | instid1(VALU_DEP_1)
	v_add_f32_e32 v4, v4, v5
	s_wait_loadcnt 0x0
	v_dual_add_f32 v3, v4, v3 :: v_dual_add_nc_u32 v0, s1, v0
	s_delay_alu instid0(VALU_DEP_1)
	v_cmp_le_i32_e32 vcc_lo, s2, v0
	global_store_b32 v[1:2], v3, off
	s_or_b32 s3, vcc_lo, s3
	s_wait_alu 0xfffe
	s_and_not1_b32 exec_lo, exec_lo, s3
	s_cbranch_execnz .LBB4_2
.LBB4_3:
	s_endpgm
	.section	.rodata,"a",@progbits
	.p2align	6, 0x0
	.amdhsa_kernel _Z14moe_sum_kernelIfLi3EEvPT_PKS0_i
		.amdhsa_group_segment_fixed_size 0
		.amdhsa_private_segment_fixed_size 0
		.amdhsa_kernarg_size 280
		.amdhsa_user_sgpr_count 2
		.amdhsa_user_sgpr_dispatch_ptr 0
		.amdhsa_user_sgpr_queue_ptr 0
		.amdhsa_user_sgpr_kernarg_segment_ptr 1
		.amdhsa_user_sgpr_dispatch_id 0
		.amdhsa_user_sgpr_private_segment_size 0
		.amdhsa_wavefront_size32 1
		.amdhsa_uses_dynamic_stack 0
		.amdhsa_enable_private_segment 0
		.amdhsa_system_sgpr_workgroup_id_x 1
		.amdhsa_system_sgpr_workgroup_id_y 0
		.amdhsa_system_sgpr_workgroup_id_z 0
		.amdhsa_system_sgpr_workgroup_info 0
		.amdhsa_system_vgpr_workitem_id 0
		.amdhsa_next_free_vgpr 8
		.amdhsa_next_free_sgpr 15
		.amdhsa_reserve_vcc 1
		.amdhsa_float_round_mode_32 0
		.amdhsa_float_round_mode_16_64 0
		.amdhsa_float_denorm_mode_32 3
		.amdhsa_float_denorm_mode_16_64 3
		.amdhsa_fp16_overflow 0
		.amdhsa_workgroup_processor_mode 1
		.amdhsa_memory_ordered 1
		.amdhsa_forward_progress 1
		.amdhsa_inst_pref_size 3
		.amdhsa_round_robin_scheduling 0
		.amdhsa_exception_fp_ieee_invalid_op 0
		.amdhsa_exception_fp_denorm_src 0
		.amdhsa_exception_fp_ieee_div_zero 0
		.amdhsa_exception_fp_ieee_overflow 0
		.amdhsa_exception_fp_ieee_underflow 0
		.amdhsa_exception_fp_ieee_inexact 0
		.amdhsa_exception_int_div_zero 0
	.end_amdhsa_kernel
	.section	.text._Z14moe_sum_kernelIfLi3EEvPT_PKS0_i,"axG",@progbits,_Z14moe_sum_kernelIfLi3EEvPT_PKS0_i,comdat
.Lfunc_end4:
	.size	_Z14moe_sum_kernelIfLi3EEvPT_PKS0_i, .Lfunc_end4-_Z14moe_sum_kernelIfLi3EEvPT_PKS0_i
                                        ; -- End function
	.set _Z14moe_sum_kernelIfLi3EEvPT_PKS0_i.num_vgpr, 8
	.set _Z14moe_sum_kernelIfLi3EEvPT_PKS0_i.num_agpr, 0
	.set _Z14moe_sum_kernelIfLi3EEvPT_PKS0_i.numbered_sgpr, 15
	.set _Z14moe_sum_kernelIfLi3EEvPT_PKS0_i.num_named_barrier, 0
	.set _Z14moe_sum_kernelIfLi3EEvPT_PKS0_i.private_seg_size, 0
	.set _Z14moe_sum_kernelIfLi3EEvPT_PKS0_i.uses_vcc, 1
	.set _Z14moe_sum_kernelIfLi3EEvPT_PKS0_i.uses_flat_scratch, 0
	.set _Z14moe_sum_kernelIfLi3EEvPT_PKS0_i.has_dyn_sized_stack, 0
	.set _Z14moe_sum_kernelIfLi3EEvPT_PKS0_i.has_recursion, 0
	.set _Z14moe_sum_kernelIfLi3EEvPT_PKS0_i.has_indirect_call, 0
	.section	.AMDGPU.csdata,"",@progbits
; Kernel info:
; codeLenInByte = 320
; TotalNumSgprs: 17
; NumVgprs: 8
; ScratchSize: 0
; MemoryBound: 0
; FloatMode: 240
; IeeeMode: 1
; LDSByteSize: 0 bytes/workgroup (compile time only)
; SGPRBlocks: 0
; VGPRBlocks: 0
; NumSGPRsForWavesPerEU: 17
; NumVGPRsForWavesPerEU: 8
; Occupancy: 16
; WaveLimiterHint : 0
; COMPUTE_PGM_RSRC2:SCRATCH_EN: 0
; COMPUTE_PGM_RSRC2:USER_SGPR: 2
; COMPUTE_PGM_RSRC2:TRAP_HANDLER: 0
; COMPUTE_PGM_RSRC2:TGID_X_EN: 1
; COMPUTE_PGM_RSRC2:TGID_Y_EN: 0
; COMPUTE_PGM_RSRC2:TGID_Z_EN: 0
; COMPUTE_PGM_RSRC2:TIDIG_COMP_CNT: 0
	.section	.text._Z14moe_sum_kernelIfLi4EEvPT_PKS0_i,"axG",@progbits,_Z14moe_sum_kernelIfLi4EEvPT_PKS0_i,comdat
	.protected	_Z14moe_sum_kernelIfLi4EEvPT_PKS0_i ; -- Begin function _Z14moe_sum_kernelIfLi4EEvPT_PKS0_i
	.globl	_Z14moe_sum_kernelIfLi4EEvPT_PKS0_i
	.p2align	8
	.type	_Z14moe_sum_kernelIfLi4EEvPT_PKS0_i,@function
_Z14moe_sum_kernelIfLi4EEvPT_PKS0_i:    ; @_Z14moe_sum_kernelIfLi4EEvPT_PKS0_i
; %bb.0:
	s_load_b32 s2, s[0:1], 0x10
	s_mov_b32 s3, exec_lo
	s_wait_kmcnt 0x0
	v_cmpx_gt_i32_e64 s2, v0
	s_cbranch_execz .LBB5_3
; %bb.1:
	s_clause 0x1
	s_load_b128 s[12:15], s[0:1], 0x0
	s_load_b32 s18, s[0:1], 0x24
	s_mov_b32 s3, 0
	s_mov_b32 s4, ttmp9
	s_wait_alu 0xfffe
	s_mov_b32 s5, s3
	s_lshl_b32 s0, s2, 1
	s_mul_u64 s[8:9], s[2:3], s[4:5]
	s_mov_b32 s1, s3
	s_mul_i32 s16, s2, 3
	s_mov_b32 s17, s3
	s_lshl_b64 s[6:7], s[0:1], 2
	s_lshl_b64 s[0:1], s[8:9], 4
	;; [unrolled: 1-line block ×4, first 2 shown]
	s_wait_kmcnt 0x0
	s_add_nc_u64 s[8:9], s[14:15], s[0:1]
	s_add_nc_u64 s[10:11], s[12:13], s[10:11]
	s_and_b32 s1, s18, 0xffff
	s_lshl_b64 s[12:13], s[16:17], 2
.LBB5_2:                                ; =>This Inner Loop Header: Depth=1
	v_ashrrev_i32_e32 v1, 31, v0
	s_delay_alu instid0(VALU_DEP_1) | instskip(NEXT) | instid1(VALU_DEP_1)
	v_lshlrev_b64_e32 v[1:2], 2, v[0:1]
	v_add_co_u32 v3, vcc_lo, s8, v1
	s_wait_alu 0xfffd
	s_delay_alu instid0(VALU_DEP_2) | instskip(SKIP_1) | instid1(VALU_DEP_3)
	v_add_co_ci_u32_e64 v4, null, s9, v2, vcc_lo
	v_add_co_u32 v1, s0, s10, v1
	v_add_co_u32 v5, vcc_lo, v3, s4
	global_load_b32 v9, v[3:4], off
	s_wait_alu 0xfffd
	v_add_co_ci_u32_e64 v6, null, s5, v4, vcc_lo
	v_add_co_u32 v7, vcc_lo, v3, s6
	s_wait_alu 0xfffd
	v_add_co_ci_u32_e64 v8, null, s7, v4, vcc_lo
	global_load_b32 v5, v[5:6], off
	v_add_co_u32 v3, vcc_lo, v3, s12
	s_wait_alu 0xfffd
	v_add_co_ci_u32_e64 v4, null, s13, v4, vcc_lo
	s_clause 0x1
	global_load_b32 v6, v[7:8], off
	global_load_b32 v3, v[3:4], off
	s_wait_alu 0xf1ff
	v_add_co_ci_u32_e64 v2, null, s11, v2, s0
	s_wait_loadcnt 0x3
	v_add_f32_e32 v4, 0, v9
	s_wait_loadcnt 0x2
	s_delay_alu instid0(VALU_DEP_1) | instskip(SKIP_1) | instid1(VALU_DEP_1)
	v_add_f32_e32 v4, v4, v5
	s_wait_loadcnt 0x1
	v_add_f32_e32 v4, v4, v6
	s_wait_loadcnt 0x0
	s_delay_alu instid0(VALU_DEP_1) | instskip(NEXT) | instid1(VALU_DEP_1)
	v_dual_add_f32 v3, v4, v3 :: v_dual_add_nc_u32 v0, s1, v0
	v_cmp_le_i32_e32 vcc_lo, s2, v0
	global_store_b32 v[1:2], v3, off
	s_or_b32 s3, vcc_lo, s3
	s_wait_alu 0xfffe
	s_and_not1_b32 exec_lo, exec_lo, s3
	s_cbranch_execnz .LBB5_2
.LBB5_3:
	s_endpgm
	.section	.rodata,"a",@progbits
	.p2align	6, 0x0
	.amdhsa_kernel _Z14moe_sum_kernelIfLi4EEvPT_PKS0_i
		.amdhsa_group_segment_fixed_size 0
		.amdhsa_private_segment_fixed_size 0
		.amdhsa_kernarg_size 280
		.amdhsa_user_sgpr_count 2
		.amdhsa_user_sgpr_dispatch_ptr 0
		.amdhsa_user_sgpr_queue_ptr 0
		.amdhsa_user_sgpr_kernarg_segment_ptr 1
		.amdhsa_user_sgpr_dispatch_id 0
		.amdhsa_user_sgpr_private_segment_size 0
		.amdhsa_wavefront_size32 1
		.amdhsa_uses_dynamic_stack 0
		.amdhsa_enable_private_segment 0
		.amdhsa_system_sgpr_workgroup_id_x 1
		.amdhsa_system_sgpr_workgroup_id_y 0
		.amdhsa_system_sgpr_workgroup_id_z 0
		.amdhsa_system_sgpr_workgroup_info 0
		.amdhsa_system_vgpr_workitem_id 0
		.amdhsa_next_free_vgpr 10
		.amdhsa_next_free_sgpr 19
		.amdhsa_reserve_vcc 1
		.amdhsa_float_round_mode_32 0
		.amdhsa_float_round_mode_16_64 0
		.amdhsa_float_denorm_mode_32 3
		.amdhsa_float_denorm_mode_16_64 3
		.amdhsa_fp16_overflow 0
		.amdhsa_workgroup_processor_mode 1
		.amdhsa_memory_ordered 1
		.amdhsa_forward_progress 1
		.amdhsa_inst_pref_size 3
		.amdhsa_round_robin_scheduling 0
		.amdhsa_exception_fp_ieee_invalid_op 0
		.amdhsa_exception_fp_denorm_src 0
		.amdhsa_exception_fp_ieee_div_zero 0
		.amdhsa_exception_fp_ieee_overflow 0
		.amdhsa_exception_fp_ieee_underflow 0
		.amdhsa_exception_fp_ieee_inexact 0
		.amdhsa_exception_int_div_zero 0
	.end_amdhsa_kernel
	.section	.text._Z14moe_sum_kernelIfLi4EEvPT_PKS0_i,"axG",@progbits,_Z14moe_sum_kernelIfLi4EEvPT_PKS0_i,comdat
.Lfunc_end5:
	.size	_Z14moe_sum_kernelIfLi4EEvPT_PKS0_i, .Lfunc_end5-_Z14moe_sum_kernelIfLi4EEvPT_PKS0_i
                                        ; -- End function
	.set _Z14moe_sum_kernelIfLi4EEvPT_PKS0_i.num_vgpr, 10
	.set _Z14moe_sum_kernelIfLi4EEvPT_PKS0_i.num_agpr, 0
	.set _Z14moe_sum_kernelIfLi4EEvPT_PKS0_i.numbered_sgpr, 19
	.set _Z14moe_sum_kernelIfLi4EEvPT_PKS0_i.num_named_barrier, 0
	.set _Z14moe_sum_kernelIfLi4EEvPT_PKS0_i.private_seg_size, 0
	.set _Z14moe_sum_kernelIfLi4EEvPT_PKS0_i.uses_vcc, 1
	.set _Z14moe_sum_kernelIfLi4EEvPT_PKS0_i.uses_flat_scratch, 0
	.set _Z14moe_sum_kernelIfLi4EEvPT_PKS0_i.has_dyn_sized_stack, 0
	.set _Z14moe_sum_kernelIfLi4EEvPT_PKS0_i.has_recursion, 0
	.set _Z14moe_sum_kernelIfLi4EEvPT_PKS0_i.has_indirect_call, 0
	.section	.AMDGPU.csdata,"",@progbits
; Kernel info:
; codeLenInByte = 372
; TotalNumSgprs: 21
; NumVgprs: 10
; ScratchSize: 0
; MemoryBound: 0
; FloatMode: 240
; IeeeMode: 1
; LDSByteSize: 0 bytes/workgroup (compile time only)
; SGPRBlocks: 0
; VGPRBlocks: 1
; NumSGPRsForWavesPerEU: 21
; NumVGPRsForWavesPerEU: 10
; Occupancy: 16
; WaveLimiterHint : 0
; COMPUTE_PGM_RSRC2:SCRATCH_EN: 0
; COMPUTE_PGM_RSRC2:USER_SGPR: 2
; COMPUTE_PGM_RSRC2:TRAP_HANDLER: 0
; COMPUTE_PGM_RSRC2:TGID_X_EN: 1
; COMPUTE_PGM_RSRC2:TGID_Y_EN: 0
; COMPUTE_PGM_RSRC2:TGID_Z_EN: 0
; COMPUTE_PGM_RSRC2:TIDIG_COMP_CNT: 0
	.section	.AMDGPU.gpr_maximums,"",@progbits
	.set amdgpu.max_num_vgpr, 0
	.set amdgpu.max_num_agpr, 0
	.set amdgpu.max_num_sgpr, 0
	.section	.AMDGPU.csdata,"",@progbits
	.type	__hip_cuid_4d3043c5f734b4b0,@object ; @__hip_cuid_4d3043c5f734b4b0
	.section	.bss,"aw",@nobits
	.globl	__hip_cuid_4d3043c5f734b4b0
__hip_cuid_4d3043c5f734b4b0:
	.byte	0                               ; 0x0
	.size	__hip_cuid_4d3043c5f734b4b0, 1

	.ident	"AMD clang version 22.0.0git (https://github.com/RadeonOpenCompute/llvm-project roc-7.2.4 26084 f58b06dce1f9c15707c5f808fd002e18c2accf7e)"
	.section	".note.GNU-stack","",@progbits
	.addrsig
	.addrsig_sym __hip_cuid_4d3043c5f734b4b0
	.amdgpu_metadata
---
amdhsa.kernels:
  - .args:
      - .actual_access:  write_only
        .address_space:  global
        .offset:         0
        .size:           8
        .value_kind:     global_buffer
      - .actual_access:  read_only
        .address_space:  global
        .offset:         8
        .size:           8
        .value_kind:     global_buffer
      - .offset:         16
        .size:           4
        .value_kind:     by_value
      - .offset:         24
        .size:           4
        .value_kind:     hidden_block_count_x
      - .offset:         28
        .size:           4
        .value_kind:     hidden_block_count_y
      - .offset:         32
        .size:           4
        .value_kind:     hidden_block_count_z
      - .offset:         36
        .size:           2
        .value_kind:     hidden_group_size_x
      - .offset:         38
        .size:           2
        .value_kind:     hidden_group_size_y
      - .offset:         40
        .size:           2
        .value_kind:     hidden_group_size_z
      - .offset:         42
        .size:           2
        .value_kind:     hidden_remainder_x
      - .offset:         44
        .size:           2
        .value_kind:     hidden_remainder_y
      - .offset:         46
        .size:           2
        .value_kind:     hidden_remainder_z
      - .offset:         64
        .size:           8
        .value_kind:     hidden_global_offset_x
      - .offset:         72
        .size:           8
        .value_kind:     hidden_global_offset_y
      - .offset:         80
        .size:           8
        .value_kind:     hidden_global_offset_z
      - .offset:         88
        .size:           2
        .value_kind:     hidden_grid_dims
    .group_segment_fixed_size: 0
    .kernarg_segment_align: 8
    .kernarg_segment_size: 280
    .language:       OpenCL C
    .language_version:
      - 2
      - 0
    .max_flat_workgroup_size: 1024
    .name:           _Z19moe_sum_kernel_vec4ILi2EEvPfPKfi
    .private_segment_fixed_size: 0
    .sgpr_count:     16
    .sgpr_spill_count: 0
    .symbol:         _Z19moe_sum_kernel_vec4ILi2EEvPfPKfi.kd
    .uniform_work_group_size: 1
    .uses_dynamic_stack: false
    .vgpr_count:     11
    .vgpr_spill_count: 0
    .wavefront_size: 32
    .workgroup_processor_mode: 1
  - .args:
      - .actual_access:  write_only
        .address_space:  global
        .offset:         0
        .size:           8
        .value_kind:     global_buffer
      - .actual_access:  read_only
        .address_space:  global
        .offset:         8
        .size:           8
        .value_kind:     global_buffer
      - .offset:         16
        .size:           4
        .value_kind:     by_value
      - .offset:         24
        .size:           4
        .value_kind:     hidden_block_count_x
      - .offset:         28
        .size:           4
        .value_kind:     hidden_block_count_y
      - .offset:         32
        .size:           4
        .value_kind:     hidden_block_count_z
      - .offset:         36
        .size:           2
        .value_kind:     hidden_group_size_x
      - .offset:         38
        .size:           2
        .value_kind:     hidden_group_size_y
      - .offset:         40
        .size:           2
        .value_kind:     hidden_group_size_z
      - .offset:         42
        .size:           2
        .value_kind:     hidden_remainder_x
      - .offset:         44
        .size:           2
        .value_kind:     hidden_remainder_y
      - .offset:         46
        .size:           2
        .value_kind:     hidden_remainder_z
      - .offset:         64
        .size:           8
        .value_kind:     hidden_global_offset_x
      - .offset:         72
        .size:           8
        .value_kind:     hidden_global_offset_y
      - .offset:         80
        .size:           8
        .value_kind:     hidden_global_offset_z
      - .offset:         88
        .size:           2
        .value_kind:     hidden_grid_dims
    .group_segment_fixed_size: 0
    .kernarg_segment_align: 8
    .kernarg_segment_size: 280
    .language:       OpenCL C
    .language_version:
      - 2
      - 0
    .max_flat_workgroup_size: 1024
    .name:           _Z19moe_sum_kernel_vec4ILi3EEvPfPKfi
    .private_segment_fixed_size: 0
    .sgpr_count:     16
    .sgpr_spill_count: 0
    .symbol:         _Z19moe_sum_kernel_vec4ILi3EEvPfPKfi.kd
    .uniform_work_group_size: 1
    .uses_dynamic_stack: false
    .vgpr_count:     15
    .vgpr_spill_count: 0
    .wavefront_size: 32
    .workgroup_processor_mode: 1
  - .args:
      - .actual_access:  write_only
        .address_space:  global
        .offset:         0
        .size:           8
        .value_kind:     global_buffer
      - .actual_access:  read_only
        .address_space:  global
        .offset:         8
        .size:           8
        .value_kind:     global_buffer
      - .offset:         16
        .size:           4
        .value_kind:     by_value
      - .offset:         24
        .size:           4
        .value_kind:     hidden_block_count_x
      - .offset:         28
        .size:           4
        .value_kind:     hidden_block_count_y
      - .offset:         32
        .size:           4
        .value_kind:     hidden_block_count_z
      - .offset:         36
        .size:           2
        .value_kind:     hidden_group_size_x
      - .offset:         38
        .size:           2
        .value_kind:     hidden_group_size_y
      - .offset:         40
        .size:           2
        .value_kind:     hidden_group_size_z
      - .offset:         42
        .size:           2
        .value_kind:     hidden_remainder_x
      - .offset:         44
        .size:           2
        .value_kind:     hidden_remainder_y
      - .offset:         46
        .size:           2
        .value_kind:     hidden_remainder_z
      - .offset:         64
        .size:           8
        .value_kind:     hidden_global_offset_x
      - .offset:         72
        .size:           8
        .value_kind:     hidden_global_offset_y
      - .offset:         80
        .size:           8
        .value_kind:     hidden_global_offset_z
      - .offset:         88
        .size:           2
        .value_kind:     hidden_grid_dims
    .group_segment_fixed_size: 0
    .kernarg_segment_align: 8
    .kernarg_segment_size: 280
    .language:       OpenCL C
    .language_version:
      - 2
      - 0
    .max_flat_workgroup_size: 1024
    .name:           _Z19moe_sum_kernel_vec4ILi4EEvPfPKfi
    .private_segment_fixed_size: 0
    .sgpr_count:     16
    .sgpr_spill_count: 0
    .symbol:         _Z19moe_sum_kernel_vec4ILi4EEvPfPKfi.kd
    .uniform_work_group_size: 1
    .uses_dynamic_stack: false
    .vgpr_count:     19
    .vgpr_spill_count: 0
    .wavefront_size: 32
    .workgroup_processor_mode: 1
  - .args:
      - .actual_access:  write_only
        .address_space:  global
        .offset:         0
        .size:           8
        .value_kind:     global_buffer
      - .actual_access:  read_only
        .address_space:  global
        .offset:         8
        .size:           8
        .value_kind:     global_buffer
      - .offset:         16
        .size:           4
        .value_kind:     by_value
      - .offset:         24
        .size:           4
        .value_kind:     hidden_block_count_x
      - .offset:         28
        .size:           4
        .value_kind:     hidden_block_count_y
      - .offset:         32
        .size:           4
        .value_kind:     hidden_block_count_z
      - .offset:         36
        .size:           2
        .value_kind:     hidden_group_size_x
      - .offset:         38
        .size:           2
        .value_kind:     hidden_group_size_y
      - .offset:         40
        .size:           2
        .value_kind:     hidden_group_size_z
      - .offset:         42
        .size:           2
        .value_kind:     hidden_remainder_x
      - .offset:         44
        .size:           2
        .value_kind:     hidden_remainder_y
      - .offset:         46
        .size:           2
        .value_kind:     hidden_remainder_z
      - .offset:         64
        .size:           8
        .value_kind:     hidden_global_offset_x
      - .offset:         72
        .size:           8
        .value_kind:     hidden_global_offset_y
      - .offset:         80
        .size:           8
        .value_kind:     hidden_global_offset_z
      - .offset:         88
        .size:           2
        .value_kind:     hidden_grid_dims
    .group_segment_fixed_size: 0
    .kernarg_segment_align: 8
    .kernarg_segment_size: 280
    .language:       OpenCL C
    .language_version:
      - 2
      - 0
    .max_flat_workgroup_size: 1024
    .name:           _Z14moe_sum_kernelIfLi2EEvPT_PKS0_i
    .private_segment_fixed_size: 0
    .sgpr_count:     15
    .sgpr_spill_count: 0
    .symbol:         _Z14moe_sum_kernelIfLi2EEvPT_PKS0_i.kd
    .uniform_work_group_size: 1
    .uses_dynamic_stack: false
    .vgpr_count:     7
    .vgpr_spill_count: 0
    .wavefront_size: 32
    .workgroup_processor_mode: 1
  - .args:
      - .actual_access:  write_only
        .address_space:  global
        .offset:         0
        .size:           8
        .value_kind:     global_buffer
      - .actual_access:  read_only
        .address_space:  global
        .offset:         8
        .size:           8
        .value_kind:     global_buffer
      - .offset:         16
        .size:           4
        .value_kind:     by_value
      - .offset:         24
        .size:           4
        .value_kind:     hidden_block_count_x
      - .offset:         28
        .size:           4
        .value_kind:     hidden_block_count_y
      - .offset:         32
        .size:           4
        .value_kind:     hidden_block_count_z
      - .offset:         36
        .size:           2
        .value_kind:     hidden_group_size_x
      - .offset:         38
        .size:           2
        .value_kind:     hidden_group_size_y
      - .offset:         40
        .size:           2
        .value_kind:     hidden_group_size_z
      - .offset:         42
        .size:           2
        .value_kind:     hidden_remainder_x
      - .offset:         44
        .size:           2
        .value_kind:     hidden_remainder_y
      - .offset:         46
        .size:           2
        .value_kind:     hidden_remainder_z
      - .offset:         64
        .size:           8
        .value_kind:     hidden_global_offset_x
      - .offset:         72
        .size:           8
        .value_kind:     hidden_global_offset_y
      - .offset:         80
        .size:           8
        .value_kind:     hidden_global_offset_z
      - .offset:         88
        .size:           2
        .value_kind:     hidden_grid_dims
    .group_segment_fixed_size: 0
    .kernarg_segment_align: 8
    .kernarg_segment_size: 280
    .language:       OpenCL C
    .language_version:
      - 2
      - 0
    .max_flat_workgroup_size: 1024
    .name:           _Z14moe_sum_kernelIfLi3EEvPT_PKS0_i
    .private_segment_fixed_size: 0
    .sgpr_count:     17
    .sgpr_spill_count: 0
    .symbol:         _Z14moe_sum_kernelIfLi3EEvPT_PKS0_i.kd
    .uniform_work_group_size: 1
    .uses_dynamic_stack: false
    .vgpr_count:     8
    .vgpr_spill_count: 0
    .wavefront_size: 32
    .workgroup_processor_mode: 1
  - .args:
      - .actual_access:  write_only
        .address_space:  global
        .offset:         0
        .size:           8
        .value_kind:     global_buffer
      - .actual_access:  read_only
        .address_space:  global
        .offset:         8
        .size:           8
        .value_kind:     global_buffer
      - .offset:         16
        .size:           4
        .value_kind:     by_value
      - .offset:         24
        .size:           4
        .value_kind:     hidden_block_count_x
      - .offset:         28
        .size:           4
        .value_kind:     hidden_block_count_y
      - .offset:         32
        .size:           4
        .value_kind:     hidden_block_count_z
      - .offset:         36
        .size:           2
        .value_kind:     hidden_group_size_x
      - .offset:         38
        .size:           2
        .value_kind:     hidden_group_size_y
      - .offset:         40
        .size:           2
        .value_kind:     hidden_group_size_z
      - .offset:         42
        .size:           2
        .value_kind:     hidden_remainder_x
      - .offset:         44
        .size:           2
        .value_kind:     hidden_remainder_y
      - .offset:         46
        .size:           2
        .value_kind:     hidden_remainder_z
      - .offset:         64
        .size:           8
        .value_kind:     hidden_global_offset_x
      - .offset:         72
        .size:           8
        .value_kind:     hidden_global_offset_y
      - .offset:         80
        .size:           8
        .value_kind:     hidden_global_offset_z
      - .offset:         88
        .size:           2
        .value_kind:     hidden_grid_dims
    .group_segment_fixed_size: 0
    .kernarg_segment_align: 8
    .kernarg_segment_size: 280
    .language:       OpenCL C
    .language_version:
      - 2
      - 0
    .max_flat_workgroup_size: 1024
    .name:           _Z14moe_sum_kernelIfLi4EEvPT_PKS0_i
    .private_segment_fixed_size: 0
    .sgpr_count:     21
    .sgpr_spill_count: 0
    .symbol:         _Z14moe_sum_kernelIfLi4EEvPT_PKS0_i.kd
    .uniform_work_group_size: 1
    .uses_dynamic_stack: false
    .vgpr_count:     10
    .vgpr_spill_count: 0
    .wavefront_size: 32
    .workgroup_processor_mode: 1
amdhsa.target:   amdgcn-amd-amdhsa--gfx1201
amdhsa.version:
  - 1
  - 2
...

	.end_amdgpu_metadata
